;; amdgpu-corpus repo=zjin-lcf/HeCBench kind=compiled arch=gfx950 opt=O3
	.amdgcn_target "amdgcn-amd-amdhsa--gfx950"
	.amdhsa_code_object_version 6
	.text
	.protected	_Z19silu_forward_kernelPKfPfm ; -- Begin function _Z19silu_forward_kernelPKfPfm
	.globl	_Z19silu_forward_kernelPKfPfm
	.p2align	8
	.type	_Z19silu_forward_kernelPKfPfm,@function
_Z19silu_forward_kernelPKfPfm:          ; @_Z19silu_forward_kernelPKfPfm
; %bb.0:
	s_load_dword s3, s[0:1], 0x24
	s_load_dwordx2 s[4:5], s[0:1], 0x10
	v_mov_b32_e32 v1, 0
	v_mov_b32_e32 v2, s2
	s_waitcnt lgkmcnt(0)
	s_and_b32 s3, s3, 0xffff
	v_mad_u64_u32 v[0:1], s[2:3], s3, v2, v[0:1]
	v_cmp_gt_u64_e32 vcc, s[4:5], v[0:1]
	s_and_saveexec_b64 s[2:3], vcc
	s_cbranch_execz .LBB0_2
; %bb.1:
	s_load_dwordx4 s[0:3], s[0:1], 0x0
	v_lshlrev_b64 v[0:1], 2, v[0:1]
	s_waitcnt lgkmcnt(0)
	v_lshl_add_u64 v[2:3], s[0:1], 0, v[0:1]
	global_load_dword v2, v[2:3], off
	s_mov_b32 s0, 0xbfb8aa3b
	s_mov_b32 s1, 0xc2b17218
	v_lshl_add_u64 v[0:1], s[2:3], 0, v[0:1]
	s_waitcnt vmcnt(0)
	v_mul_f32_e32 v3, 0xbfb8aa3b, v2
	v_fma_f32 v4, v2, s0, -v3
	v_rndne_f32_e32 v5, v3
	v_fmamk_f32 v4, v2, 0xb2a5705f, v4
	v_sub_f32_e32 v3, v3, v5
	v_add_f32_e32 v3, v3, v4
	v_cvt_i32_f32_e32 v5, v5
	v_exp_f32_e32 v3, v3
	s_mov_b32 s0, 0x42ce8ed0
	v_cmp_nlt_f32_e32 vcc, s0, v2
	v_mov_b32_e32 v4, 0x7f800000
	v_ldexp_f32 v3, v3, v5
	v_cndmask_b32_e32 v3, 0, v3, vcc
	v_cmp_ngt_f32_e32 vcc, s1, v2
	s_nop 1
	v_cndmask_b32_e32 v3, v4, v3, vcc
	v_add_f32_e32 v3, 1.0, v3
	v_div_scale_f32 v4, s[0:1], v3, v3, v2
	v_rcp_f32_e32 v5, v4
	v_div_scale_f32 v6, vcc, v2, v3, v2
	v_fma_f32 v7, -v4, v5, 1.0
	v_fmac_f32_e32 v5, v7, v5
	v_mul_f32_e32 v7, v6, v5
	v_fma_f32 v8, -v4, v7, v6
	v_fmac_f32_e32 v7, v8, v5
	v_fma_f32 v4, -v4, v7, v6
	v_div_fmas_f32 v4, v4, v5, v7
	v_div_fixup_f32 v2, v4, v3, v2
	global_store_dword v[0:1], v2, off
.LBB0_2:
	s_endpgm
	.section	.rodata,"a",@progbits
	.p2align	6, 0x0
	.amdhsa_kernel _Z19silu_forward_kernelPKfPfm
		.amdhsa_group_segment_fixed_size 0
		.amdhsa_private_segment_fixed_size 0
		.amdhsa_kernarg_size 280
		.amdhsa_user_sgpr_count 2
		.amdhsa_user_sgpr_dispatch_ptr 0
		.amdhsa_user_sgpr_queue_ptr 0
		.amdhsa_user_sgpr_kernarg_segment_ptr 1
		.amdhsa_user_sgpr_dispatch_id 0
		.amdhsa_user_sgpr_kernarg_preload_length 0
		.amdhsa_user_sgpr_kernarg_preload_offset 0
		.amdhsa_user_sgpr_private_segment_size 0
		.amdhsa_uses_dynamic_stack 0
		.amdhsa_enable_private_segment 0
		.amdhsa_system_sgpr_workgroup_id_x 1
		.amdhsa_system_sgpr_workgroup_id_y 0
		.amdhsa_system_sgpr_workgroup_id_z 0
		.amdhsa_system_sgpr_workgroup_info 0
		.amdhsa_system_vgpr_workitem_id 0
		.amdhsa_next_free_vgpr 9
		.amdhsa_next_free_sgpr 6
		.amdhsa_accum_offset 12
		.amdhsa_reserve_vcc 1
		.amdhsa_float_round_mode_32 0
		.amdhsa_float_round_mode_16_64 0
		.amdhsa_float_denorm_mode_32 3
		.amdhsa_float_denorm_mode_16_64 3
		.amdhsa_dx10_clamp 1
		.amdhsa_ieee_mode 1
		.amdhsa_fp16_overflow 0
		.amdhsa_tg_split 0
		.amdhsa_exception_fp_ieee_invalid_op 0
		.amdhsa_exception_fp_denorm_src 0
		.amdhsa_exception_fp_ieee_div_zero 0
		.amdhsa_exception_fp_ieee_overflow 0
		.amdhsa_exception_fp_ieee_underflow 0
		.amdhsa_exception_fp_ieee_inexact 0
		.amdhsa_exception_int_div_zero 0
	.end_amdhsa_kernel
	.text
.Lfunc_end0:
	.size	_Z19silu_forward_kernelPKfPfm, .Lfunc_end0-_Z19silu_forward_kernelPKfPfm
                                        ; -- End function
	.set _Z19silu_forward_kernelPKfPfm.num_vgpr, 9
	.set _Z19silu_forward_kernelPKfPfm.num_agpr, 0
	.set _Z19silu_forward_kernelPKfPfm.numbered_sgpr, 6
	.set _Z19silu_forward_kernelPKfPfm.num_named_barrier, 0
	.set _Z19silu_forward_kernelPKfPfm.private_seg_size, 0
	.set _Z19silu_forward_kernelPKfPfm.uses_vcc, 1
	.set _Z19silu_forward_kernelPKfPfm.uses_flat_scratch, 0
	.set _Z19silu_forward_kernelPKfPfm.has_dyn_sized_stack, 0
	.set _Z19silu_forward_kernelPKfPfm.has_recursion, 0
	.set _Z19silu_forward_kernelPKfPfm.has_indirect_call, 0
	.section	.AMDGPU.csdata,"",@progbits
; Kernel info:
; codeLenInByte = 296
; TotalNumSgprs: 12
; NumVgprs: 9
; NumAgprs: 0
; TotalNumVgprs: 9
; ScratchSize: 0
; MemoryBound: 0
; FloatMode: 240
; IeeeMode: 1
; LDSByteSize: 0 bytes/workgroup (compile time only)
; SGPRBlocks: 1
; VGPRBlocks: 1
; NumSGPRsForWavesPerEU: 12
; NumVGPRsForWavesPerEU: 9
; AccumOffset: 12
; Occupancy: 8
; WaveLimiterHint : 0
; COMPUTE_PGM_RSRC2:SCRATCH_EN: 0
; COMPUTE_PGM_RSRC2:USER_SGPR: 2
; COMPUTE_PGM_RSRC2:TRAP_HANDLER: 0
; COMPUTE_PGM_RSRC2:TGID_X_EN: 1
; COMPUTE_PGM_RSRC2:TGID_Y_EN: 0
; COMPUTE_PGM_RSRC2:TGID_Z_EN: 0
; COMPUTE_PGM_RSRC2:TIDIG_COMP_CNT: 0
; COMPUTE_PGM_RSRC3_GFX90A:ACCUM_OFFSET: 2
; COMPUTE_PGM_RSRC3_GFX90A:TG_SPLIT: 0
	.text
	.protected	_Z20silu_forward_kernel2PKfPfm ; -- Begin function _Z20silu_forward_kernel2PKfPfm
	.globl	_Z20silu_forward_kernel2PKfPfm
	.p2align	8
	.type	_Z20silu_forward_kernel2PKfPfm,@function
_Z20silu_forward_kernel2PKfPfm:         ; @_Z20silu_forward_kernel2PKfPfm
; %bb.0:
	s_load_dword s3, s[0:1], 0x24
	s_load_dwordx4 s[4:7], s[0:1], 0x0
	s_load_dwordx2 s[8:9], s[0:1], 0x10
	v_mov_b32_e32 v1, 0
	v_mov_b32_e32 v2, s2
	s_waitcnt lgkmcnt(0)
	s_and_b32 s10, s3, 0xffff
	v_mad_u64_u32 v[4:5], s[0:1], s10, v2, v[0:1]
	s_lshr_b64 s[0:1], s[8:9], 2
	s_nop 0
	v_cmp_gt_u64_e32 vcc, s[0:1], v[4:5]
	s_and_saveexec_b64 s[12:13], vcc
	s_cbranch_execz .LBB1_2
; %bb.1:
	v_lshlrev_b64 v[6:7], 4, v[4:5]
	v_lshl_add_u64 v[0:1], s[4:5], 0, v[6:7]
	global_load_dwordx4 v[0:3], v[0:1], off
	s_mov_b32 s0, 0xbfb8aa3b
	s_mov_b32 s1, 0x42ce8ed0
	;; [unrolled: 1-line block ×3, first 2 shown]
	v_mov_b32_e32 v11, 0x7f800000
	v_lshl_add_u64 v[6:7], s[6:7], 0, v[6:7]
	s_waitcnt vmcnt(0)
	v_mul_f32_e32 v8, 0xbfb8aa3b, v0
	v_mul_f32_e32 v9, 0xbfb8aa3b, v1
	v_fma_f32 v13, v0, s0, -v8
	v_rndne_f32_e32 v14, v8
	v_mul_f32_e32 v10, 0xbfb8aa3b, v2
	v_fma_f32 v15, v1, s0, -v9
	v_rndne_f32_e32 v16, v9
	v_fmac_f32_e32 v13, 0xb2a5705f, v0
	v_sub_f32_e32 v8, v8, v14
	v_mul_f32_e32 v12, 0xbfb8aa3b, v3
	v_fma_f32 v17, v2, s0, -v10
	v_rndne_f32_e32 v18, v10
	v_fmac_f32_e32 v15, 0xb2a5705f, v1
	v_sub_f32_e32 v9, v9, v16
	v_add_f32_e32 v8, v8, v13
	v_fma_f32 v19, v3, s0, -v12
	v_rndne_f32_e32 v20, v12
	v_cvt_i32_f32_e32 v14, v14
	v_fmac_f32_e32 v17, 0xb2a5705f, v2
	v_sub_f32_e32 v10, v10, v18
	v_add_f32_e32 v9, v9, v15
	v_exp_f32_e32 v8, v8
	v_cvt_i32_f32_e32 v16, v16
	v_fmac_f32_e32 v19, 0xb2a5705f, v3
	v_sub_f32_e32 v12, v12, v20
	v_add_f32_e32 v10, v10, v17
	v_exp_f32_e32 v9, v9
	v_cvt_i32_f32_e32 v18, v18
	v_add_f32_e32 v12, v12, v19
	v_exp_f32_e32 v10, v10
	v_cvt_i32_f32_e32 v20, v20
	v_exp_f32_e32 v12, v12
	v_ldexp_f32 v8, v8, v14
	v_cmp_nlt_f32_e32 vcc, s1, v0
	v_ldexp_f32 v9, v9, v16
	v_ldexp_f32 v10, v10, v18
	v_cndmask_b32_e32 v8, 0, v8, vcc
	v_cmp_nlt_f32_e32 vcc, s1, v1
	v_ldexp_f32 v12, v12, v20
	s_nop 0
	v_cndmask_b32_e32 v9, 0, v9, vcc
	v_cmp_nlt_f32_e32 vcc, s1, v2
	s_nop 1
	v_cndmask_b32_e32 v10, 0, v10, vcc
	v_cmp_nlt_f32_e32 vcc, s1, v3
	s_nop 1
	v_cndmask_b32_e32 v12, 0, v12, vcc
	v_cmp_ngt_f32_e32 vcc, s2, v0
	s_nop 1
	v_cndmask_b32_e32 v8, v11, v8, vcc
	v_cmp_ngt_f32_e32 vcc, s2, v1
	;; [unrolled: 3-line block ×3, first 2 shown]
	v_pk_add_f32 v[8:9], v[8:9], 1.0 op_sel_hi:[1,0]
	s_nop 0
	v_cndmask_b32_e32 v10, v11, v10, vcc
	v_cmp_ngt_f32_e32 vcc, s2, v3
	v_div_scale_f32 v14, s[0:1], v8, v8, v0
	s_nop 0
	v_cndmask_b32_e32 v11, v11, v12, vcc
	v_div_scale_f32 v12, s[0:1], v9, v9, v1
	v_pk_add_f32 v[10:11], v[10:11], 1.0 op_sel_hi:[1,0]
	v_rcp_f32_e32 v19, v12
	v_div_scale_f32 v16, s[2:3], v11, v11, v3
	v_div_scale_f32 v18, s[14:15], v10, v10, v2
	v_rcp_f32_e32 v20, v14
	v_rcp_f32_e32 v21, v16
	;; [unrolled: 1-line block ×3, first 2 shown]
	v_fma_f32 v23, -v12, v19, 1.0
	v_div_scale_f32 v13, vcc, v1, v9, v1
	v_fma_f32 v24, -v14, v20, 1.0
	v_fmac_f32_e32 v19, v23, v19
	v_div_scale_f32 v15, s[0:1], v0, v8, v0
	v_fma_f32 v25, -v16, v21, 1.0
	v_fma_f32 v26, -v18, v22, 1.0
	v_fmac_f32_e32 v20, v24, v20
	v_mul_f32_e32 v23, v13, v19
	v_div_scale_f32 v17, s[2:3], v3, v11, v3
	v_fmac_f32_e32 v21, v25, v21
	v_fmac_f32_e32 v22, v26, v22
	v_mul_f32_e32 v24, v15, v20
	v_fma_f32 v26, -v12, v23, v13
	v_mul_f32_e32 v25, v17, v21
	v_fma_f32 v27, -v14, v24, v15
	v_fmac_f32_e32 v23, v26, v19
	v_fma_f32 v28, -v16, v25, v17
	v_fmac_f32_e32 v24, v27, v20
	;; [unrolled: 2-line block ×3, first 2 shown]
	v_fma_f32 v13, -v14, v24, v15
	v_div_fmas_f32 v12, v12, v19, v23
	s_mov_b64 vcc, s[0:1]
	v_fma_f32 v14, -v16, v25, v17
	v_div_fixup_f32 v1, v12, v9, v1
	v_div_fmas_f32 v9, v13, v20, v24
	s_mov_b64 vcc, s[2:3]
	v_div_fixup_f32 v0, v9, v8, v0
	v_div_fmas_f32 v8, v14, v21, v25
	v_div_fixup_f32 v3, v8, v11, v3
	v_div_scale_f32 v8, vcc, v2, v10, v2
	v_mul_f32_e32 v9, v8, v22
	v_fma_f32 v11, -v18, v9, v8
	v_fmac_f32_e32 v9, v11, v22
	v_fma_f32 v8, -v18, v9, v8
	v_div_fmas_f32 v8, v8, v22, v9
	v_div_fixup_f32 v2, v8, v10, v2
	global_store_dwordx4 v[6:7], v[0:3], off
.LBB1_2:
	s_or_b64 exec, exec, s[12:13]
	s_and_b32 s0, s8, -4
	s_mov_b32 s1, s9
	v_lshl_add_u64 v[0:1], v[4:5], 0, s[0:1]
	v_cmp_gt_u64_e32 vcc, s[8:9], v[0:1]
	s_and_saveexec_b64 s[0:1], vcc
	s_cbranch_execz .LBB1_5
; %bb.3:
	s_mov_b32 s11, 0
	v_lshlrev_b64 v[2:3], 2, v[0:1]
	s_lshl_b32 s0, s10, 2
	s_mov_b32 s1, s11
	s_mov_b64 s[2:3], 0
	s_mov_b32 s12, 0xbfb8aa3b
	s_mov_b32 s13, 0x42ce8ed0
	;; [unrolled: 1-line block ×3, first 2 shown]
	v_mov_b32_e32 v4, 0x7f800000
.LBB1_4:                                ; =>This Inner Loop Header: Depth=1
	v_lshl_add_u64 v[6:7], s[4:5], 0, v[2:3]
	global_load_dword v5, v[6:7], off
	v_lshl_add_u64 v[0:1], v[0:1], 0, s[10:11]
	v_cmp_le_u64_e32 vcc, s[8:9], v[0:1]
	s_or_b64 s[2:3], vcc, s[2:3]
	v_lshl_add_u64 v[6:7], s[6:7], 0, v[2:3]
	v_lshl_add_u64 v[2:3], v[2:3], 0, s[0:1]
	s_waitcnt vmcnt(0)
	v_mul_f32_e32 v8, 0xbfb8aa3b, v5
	v_fma_f32 v9, v5, s12, -v8
	v_rndne_f32_e32 v10, v8
	v_fmac_f32_e32 v9, 0xb2a5705f, v5
	v_sub_f32_e32 v8, v8, v10
	v_add_f32_e32 v8, v8, v9
	v_cvt_i32_f32_e32 v10, v10
	v_exp_f32_e32 v8, v8
	v_cmp_nlt_f32_e32 vcc, s13, v5
	v_ldexp_f32 v8, v8, v10
	s_nop 0
	v_cndmask_b32_e32 v8, 0, v8, vcc
	v_cmp_ngt_f32_e32 vcc, s14, v5
	s_nop 1
	v_cndmask_b32_e32 v8, v4, v8, vcc
	v_add_f32_e32 v8, 1.0, v8
	v_div_scale_f32 v9, s[16:17], v8, v8, v5
	v_rcp_f32_e32 v10, v9
	v_div_scale_f32 v11, vcc, v5, v8, v5
	v_fma_f32 v12, -v9, v10, 1.0
	v_fmac_f32_e32 v10, v12, v10
	v_mul_f32_e32 v12, v11, v10
	v_fma_f32 v13, -v9, v12, v11
	v_fmac_f32_e32 v12, v13, v10
	v_fma_f32 v9, -v9, v12, v11
	v_div_fmas_f32 v9, v9, v10, v12
	v_div_fixup_f32 v5, v9, v8, v5
	global_store_dword v[6:7], v5, off
	s_andn2_b64 exec, exec, s[2:3]
	s_cbranch_execnz .LBB1_4
.LBB1_5:
	s_endpgm
	.section	.rodata,"a",@progbits
	.p2align	6, 0x0
	.amdhsa_kernel _Z20silu_forward_kernel2PKfPfm
		.amdhsa_group_segment_fixed_size 0
		.amdhsa_private_segment_fixed_size 0
		.amdhsa_kernarg_size 280
		.amdhsa_user_sgpr_count 2
		.amdhsa_user_sgpr_dispatch_ptr 0
		.amdhsa_user_sgpr_queue_ptr 0
		.amdhsa_user_sgpr_kernarg_segment_ptr 1
		.amdhsa_user_sgpr_dispatch_id 0
		.amdhsa_user_sgpr_kernarg_preload_length 0
		.amdhsa_user_sgpr_kernarg_preload_offset 0
		.amdhsa_user_sgpr_private_segment_size 0
		.amdhsa_uses_dynamic_stack 0
		.amdhsa_enable_private_segment 0
		.amdhsa_system_sgpr_workgroup_id_x 1
		.amdhsa_system_sgpr_workgroup_id_y 0
		.amdhsa_system_sgpr_workgroup_id_z 0
		.amdhsa_system_sgpr_workgroup_info 0
		.amdhsa_system_vgpr_workitem_id 0
		.amdhsa_next_free_vgpr 29
		.amdhsa_next_free_sgpr 18
		.amdhsa_accum_offset 32
		.amdhsa_reserve_vcc 1
		.amdhsa_float_round_mode_32 0
		.amdhsa_float_round_mode_16_64 0
		.amdhsa_float_denorm_mode_32 3
		.amdhsa_float_denorm_mode_16_64 3
		.amdhsa_dx10_clamp 1
		.amdhsa_ieee_mode 1
		.amdhsa_fp16_overflow 0
		.amdhsa_tg_split 0
		.amdhsa_exception_fp_ieee_invalid_op 0
		.amdhsa_exception_fp_denorm_src 0
		.amdhsa_exception_fp_ieee_div_zero 0
		.amdhsa_exception_fp_ieee_overflow 0
		.amdhsa_exception_fp_ieee_underflow 0
		.amdhsa_exception_fp_ieee_inexact 0
		.amdhsa_exception_int_div_zero 0
	.end_amdhsa_kernel
	.text
.Lfunc_end1:
	.size	_Z20silu_forward_kernel2PKfPfm, .Lfunc_end1-_Z20silu_forward_kernel2PKfPfm
                                        ; -- End function
	.set _Z20silu_forward_kernel2PKfPfm.num_vgpr, 29
	.set _Z20silu_forward_kernel2PKfPfm.num_agpr, 0
	.set _Z20silu_forward_kernel2PKfPfm.numbered_sgpr, 18
	.set _Z20silu_forward_kernel2PKfPfm.num_named_barrier, 0
	.set _Z20silu_forward_kernel2PKfPfm.private_seg_size, 0
	.set _Z20silu_forward_kernel2PKfPfm.uses_vcc, 1
	.set _Z20silu_forward_kernel2PKfPfm.uses_flat_scratch, 0
	.set _Z20silu_forward_kernel2PKfPfm.has_dyn_sized_stack, 0
	.set _Z20silu_forward_kernel2PKfPfm.has_recursion, 0
	.set _Z20silu_forward_kernel2PKfPfm.has_indirect_call, 0
	.section	.AMDGPU.csdata,"",@progbits
; Kernel info:
; codeLenInByte = 1072
; TotalNumSgprs: 24
; NumVgprs: 29
; NumAgprs: 0
; TotalNumVgprs: 29
; ScratchSize: 0
; MemoryBound: 0
; FloatMode: 240
; IeeeMode: 1
; LDSByteSize: 0 bytes/workgroup (compile time only)
; SGPRBlocks: 2
; VGPRBlocks: 3
; NumSGPRsForWavesPerEU: 24
; NumVGPRsForWavesPerEU: 29
; AccumOffset: 32
; Occupancy: 8
; WaveLimiterHint : 0
; COMPUTE_PGM_RSRC2:SCRATCH_EN: 0
; COMPUTE_PGM_RSRC2:USER_SGPR: 2
; COMPUTE_PGM_RSRC2:TRAP_HANDLER: 0
; COMPUTE_PGM_RSRC2:TGID_X_EN: 1
; COMPUTE_PGM_RSRC2:TGID_Y_EN: 0
; COMPUTE_PGM_RSRC2:TGID_Z_EN: 0
; COMPUTE_PGM_RSRC2:TIDIG_COMP_CNT: 0
; COMPUTE_PGM_RSRC3_GFX90A:ACCUM_OFFSET: 7
; COMPUTE_PGM_RSRC3_GFX90A:TG_SPLIT: 0
	.text
	.protected	_Z20silu_backward_kernelPKfS0_Pfm ; -- Begin function _Z20silu_backward_kernelPKfS0_Pfm
	.globl	_Z20silu_backward_kernelPKfS0_Pfm
	.p2align	8
	.type	_Z20silu_backward_kernelPKfS0_Pfm,@function
_Z20silu_backward_kernelPKfS0_Pfm:      ; @_Z20silu_backward_kernelPKfS0_Pfm
; %bb.0:
	s_load_dword s3, s[0:1], 0x2c
	s_load_dwordx8 s[4:11], s[0:1], 0x0
	v_mov_b32_e32 v1, 0
	v_mov_b32_e32 v2, s2
	s_waitcnt lgkmcnt(0)
	s_and_b32 s0, s3, 0xffff
	v_mad_u64_u32 v[0:1], s[0:1], s0, v2, v[0:1]
	v_cmp_gt_u64_e32 vcc, s[10:11], v[0:1]
	s_and_saveexec_b64 s[0:1], vcc
	s_cbranch_execz .LBB2_2
; %bb.1:
	v_lshlrev_b64 v[0:1], 2, v[0:1]
	v_lshl_add_u64 v[2:3], s[6:7], 0, v[0:1]
	global_load_dword v4, v[2:3], off
	v_lshl_add_u64 v[2:3], s[4:5], 0, v[0:1]
	global_load_dword v2, v[2:3], off
	s_mov_b32 s0, 0xbfb8aa3b
	s_mov_b32 s1, 0xc2b17218
	v_lshl_add_u64 v[0:1], s[8:9], 0, v[0:1]
	s_waitcnt vmcnt(1)
	v_mul_f32_e32 v3, 0xbfb8aa3b, v4
	v_fma_f32 v5, v4, s0, -v3
	v_rndne_f32_e32 v6, v3
	v_fmamk_f32 v5, v4, 0xb2a5705f, v5
	v_sub_f32_e32 v3, v3, v6
	v_add_f32_e32 v3, v3, v5
	v_cvt_i32_f32_e32 v6, v6
	v_exp_f32_e32 v3, v3
	s_mov_b32 s0, 0x42ce8ed0
	v_cmp_nlt_f32_e32 vcc, s0, v4
	v_mov_b32_e32 v5, 0x7f800000
	v_ldexp_f32 v3, v3, v6
	v_cndmask_b32_e32 v3, 0, v3, vcc
	v_cmp_ngt_f32_e32 vcc, s1, v4
	s_nop 1
	v_cndmask_b32_e32 v3, v5, v3, vcc
	v_mul_f32_e32 v4, v4, v3
	v_add_f32_e32 v3, 1.0, v3
	v_div_scale_f32 v5, s[0:1], v3, v3, v4
	v_rcp_f32_e32 v6, v5
	v_div_scale_f32 v7, vcc, v4, v3, v4
	v_fma_f32 v8, -v5, v6, 1.0
	v_fmac_f32_e32 v6, v8, v6
	v_mul_f32_e32 v8, v7, v6
	v_fma_f32 v9, -v5, v8, v7
	v_fmac_f32_e32 v8, v9, v6
	v_fma_f32 v5, -v5, v8, v7
	v_div_fmas_f32 v5, v5, v6, v8
	v_div_fixup_f32 v4, v5, v3, v4
	v_add_f32_e32 v4, 1.0, v4
	v_div_scale_f32 v5, s[0:1], v3, v3, v4
	v_rcp_f32_e32 v6, v5
	v_div_scale_f32 v7, vcc, v4, v3, v4
	v_fma_f32 v8, -v5, v6, 1.0
	v_fmac_f32_e32 v6, v8, v6
	v_mul_f32_e32 v8, v7, v6
	v_fma_f32 v9, -v5, v8, v7
	v_fmac_f32_e32 v8, v9, v6
	v_fma_f32 v5, -v5, v8, v7
	v_div_fmas_f32 v5, v5, v6, v8
	v_div_fixup_f32 v3, v5, v3, v4
	s_waitcnt vmcnt(0)
	v_mul_f32_e32 v2, v2, v3
	global_store_dword v[0:1], v2, off
.LBB2_2:
	s_endpgm
	.section	.rodata,"a",@progbits
	.p2align	6, 0x0
	.amdhsa_kernel _Z20silu_backward_kernelPKfS0_Pfm
		.amdhsa_group_segment_fixed_size 0
		.amdhsa_private_segment_fixed_size 0
		.amdhsa_kernarg_size 288
		.amdhsa_user_sgpr_count 2
		.amdhsa_user_sgpr_dispatch_ptr 0
		.amdhsa_user_sgpr_queue_ptr 0
		.amdhsa_user_sgpr_kernarg_segment_ptr 1
		.amdhsa_user_sgpr_dispatch_id 0
		.amdhsa_user_sgpr_kernarg_preload_length 0
		.amdhsa_user_sgpr_kernarg_preload_offset 0
		.amdhsa_user_sgpr_private_segment_size 0
		.amdhsa_uses_dynamic_stack 0
		.amdhsa_enable_private_segment 0
		.amdhsa_system_sgpr_workgroup_id_x 1
		.amdhsa_system_sgpr_workgroup_id_y 0
		.amdhsa_system_sgpr_workgroup_id_z 0
		.amdhsa_system_sgpr_workgroup_info 0
		.amdhsa_system_vgpr_workitem_id 0
		.amdhsa_next_free_vgpr 10
		.amdhsa_next_free_sgpr 12
		.amdhsa_accum_offset 12
		.amdhsa_reserve_vcc 1
		.amdhsa_float_round_mode_32 0
		.amdhsa_float_round_mode_16_64 0
		.amdhsa_float_denorm_mode_32 3
		.amdhsa_float_denorm_mode_16_64 3
		.amdhsa_dx10_clamp 1
		.amdhsa_ieee_mode 1
		.amdhsa_fp16_overflow 0
		.amdhsa_tg_split 0
		.amdhsa_exception_fp_ieee_invalid_op 0
		.amdhsa_exception_fp_denorm_src 0
		.amdhsa_exception_fp_ieee_div_zero 0
		.amdhsa_exception_fp_ieee_overflow 0
		.amdhsa_exception_fp_ieee_underflow 0
		.amdhsa_exception_fp_ieee_inexact 0
		.amdhsa_exception_int_div_zero 0
	.end_amdhsa_kernel
	.text
.Lfunc_end2:
	.size	_Z20silu_backward_kernelPKfS0_Pfm, .Lfunc_end2-_Z20silu_backward_kernelPKfS0_Pfm
                                        ; -- End function
	.set _Z20silu_backward_kernelPKfS0_Pfm.num_vgpr, 10
	.set _Z20silu_backward_kernelPKfS0_Pfm.num_agpr, 0
	.set _Z20silu_backward_kernelPKfS0_Pfm.numbered_sgpr, 12
	.set _Z20silu_backward_kernelPKfS0_Pfm.num_named_barrier, 0
	.set _Z20silu_backward_kernelPKfS0_Pfm.private_seg_size, 0
	.set _Z20silu_backward_kernelPKfS0_Pfm.uses_vcc, 1
	.set _Z20silu_backward_kernelPKfS0_Pfm.uses_flat_scratch, 0
	.set _Z20silu_backward_kernelPKfS0_Pfm.has_dyn_sized_stack, 0
	.set _Z20silu_backward_kernelPKfS0_Pfm.has_recursion, 0
	.set _Z20silu_backward_kernelPKfS0_Pfm.has_indirect_call, 0
	.section	.AMDGPU.csdata,"",@progbits
; Kernel info:
; codeLenInByte = 388
; TotalNumSgprs: 18
; NumVgprs: 10
; NumAgprs: 0
; TotalNumVgprs: 10
; ScratchSize: 0
; MemoryBound: 0
; FloatMode: 240
; IeeeMode: 1
; LDSByteSize: 0 bytes/workgroup (compile time only)
; SGPRBlocks: 2
; VGPRBlocks: 1
; NumSGPRsForWavesPerEU: 18
; NumVGPRsForWavesPerEU: 10
; AccumOffset: 12
; Occupancy: 8
; WaveLimiterHint : 0
; COMPUTE_PGM_RSRC2:SCRATCH_EN: 0
; COMPUTE_PGM_RSRC2:USER_SGPR: 2
; COMPUTE_PGM_RSRC2:TRAP_HANDLER: 0
; COMPUTE_PGM_RSRC2:TGID_X_EN: 1
; COMPUTE_PGM_RSRC2:TGID_Y_EN: 0
; COMPUTE_PGM_RSRC2:TGID_Z_EN: 0
; COMPUTE_PGM_RSRC2:TIDIG_COMP_CNT: 0
; COMPUTE_PGM_RSRC3_GFX90A:ACCUM_OFFSET: 2
; COMPUTE_PGM_RSRC3_GFX90A:TG_SPLIT: 0
	.text
	.protected	_Z21silu_backward_kernel2PKfS0_Pfm ; -- Begin function _Z21silu_backward_kernel2PKfS0_Pfm
	.globl	_Z21silu_backward_kernel2PKfS0_Pfm
	.p2align	8
	.type	_Z21silu_backward_kernel2PKfS0_Pfm,@function
_Z21silu_backward_kernel2PKfS0_Pfm:     ; @_Z21silu_backward_kernel2PKfS0_Pfm
; %bb.0:
	s_load_dword s3, s[0:1], 0x2c
	s_load_dwordx8 s[4:11], s[0:1], 0x0
	v_mov_b32_e32 v1, 0
	v_mov_b32_e32 v2, s2
	s_waitcnt lgkmcnt(0)
	s_and_b32 s0, s3, 0xffff
	v_mad_u64_u32 v[0:1], s[0:1], s0, v2, v[0:1]
	v_cmp_gt_u64_e32 vcc, s[10:11], v[0:1]
	s_and_saveexec_b64 s[0:1], vcc
	s_cbranch_execz .LBB3_2
; %bb.1:
	v_lshlrev_b64 v[0:1], 2, v[0:1]
	v_lshl_add_u64 v[2:3], s[6:7], 0, v[0:1]
	global_load_dword v4, v[2:3], off
	v_lshl_add_u64 v[2:3], s[4:5], 0, v[0:1]
	global_load_dword v2, v[2:3], off
	s_mov_b32 s0, 0xbfb8aa3b
	s_mov_b32 s1, 0xc2b17218
	v_lshl_add_u64 v[0:1], s[8:9], 0, v[0:1]
	s_waitcnt vmcnt(1)
	v_mul_f32_e32 v3, 0xbfb8aa3b, v4
	v_fma_f32 v5, v4, s0, -v3
	v_rndne_f32_e32 v6, v3
	v_fmamk_f32 v5, v4, 0xb2a5705f, v5
	v_sub_f32_e32 v3, v3, v6
	v_add_f32_e32 v3, v3, v5
	v_cvt_i32_f32_e32 v6, v6
	v_exp_f32_e32 v3, v3
	s_mov_b32 s0, 0x42ce8ed0
	v_cmp_nlt_f32_e32 vcc, s0, v4
	v_mov_b32_e32 v5, 0x7f800000
	v_ldexp_f32 v3, v3, v6
	v_cndmask_b32_e32 v3, 0, v3, vcc
	v_cmp_ngt_f32_e32 vcc, s1, v4
	s_nop 1
	v_cndmask_b32_e32 v3, v5, v3, vcc
	v_add_f32_e32 v3, 1.0, v3
	v_div_scale_f32 v5, s[0:1], v3, v3, 1.0
	v_rcp_f32_e32 v6, v5
	v_div_scale_f32 v7, vcc, 1.0, v3, 1.0
	v_fma_f32 v8, -v5, v6, 1.0
	v_fmac_f32_e32 v6, v8, v6
	v_mul_f32_e32 v8, v7, v6
	v_fma_f32 v9, -v5, v8, v7
	v_fmac_f32_e32 v8, v9, v6
	v_fma_f32 v5, -v5, v8, v7
	v_div_fmas_f32 v5, v5, v6, v8
	v_div_fixup_f32 v3, v5, v3, 1.0
	v_sub_f32_e32 v5, 1.0, v3
	v_fma_f32 v4, v4, v5, 1.0
	v_mul_f32_e32 v3, v3, v4
	s_waitcnt vmcnt(0)
	v_mul_f32_e32 v2, v2, v3
	global_store_dword v[0:1], v2, off
.LBB3_2:
	s_endpgm
	.section	.rodata,"a",@progbits
	.p2align	6, 0x0
	.amdhsa_kernel _Z21silu_backward_kernel2PKfS0_Pfm
		.amdhsa_group_segment_fixed_size 0
		.amdhsa_private_segment_fixed_size 0
		.amdhsa_kernarg_size 288
		.amdhsa_user_sgpr_count 2
		.amdhsa_user_sgpr_dispatch_ptr 0
		.amdhsa_user_sgpr_queue_ptr 0
		.amdhsa_user_sgpr_kernarg_segment_ptr 1
		.amdhsa_user_sgpr_dispatch_id 0
		.amdhsa_user_sgpr_kernarg_preload_length 0
		.amdhsa_user_sgpr_kernarg_preload_offset 0
		.amdhsa_user_sgpr_private_segment_size 0
		.amdhsa_uses_dynamic_stack 0
		.amdhsa_enable_private_segment 0
		.amdhsa_system_sgpr_workgroup_id_x 1
		.amdhsa_system_sgpr_workgroup_id_y 0
		.amdhsa_system_sgpr_workgroup_id_z 0
		.amdhsa_system_sgpr_workgroup_info 0
		.amdhsa_system_vgpr_workitem_id 0
		.amdhsa_next_free_vgpr 10
		.amdhsa_next_free_sgpr 12
		.amdhsa_accum_offset 12
		.amdhsa_reserve_vcc 1
		.amdhsa_float_round_mode_32 0
		.amdhsa_float_round_mode_16_64 0
		.amdhsa_float_denorm_mode_32 3
		.amdhsa_float_denorm_mode_16_64 3
		.amdhsa_dx10_clamp 1
		.amdhsa_ieee_mode 1
		.amdhsa_fp16_overflow 0
		.amdhsa_tg_split 0
		.amdhsa_exception_fp_ieee_invalid_op 0
		.amdhsa_exception_fp_denorm_src 0
		.amdhsa_exception_fp_ieee_div_zero 0
		.amdhsa_exception_fp_ieee_overflow 0
		.amdhsa_exception_fp_ieee_underflow 0
		.amdhsa_exception_fp_ieee_inexact 0
		.amdhsa_exception_int_div_zero 0
	.end_amdhsa_kernel
	.text
.Lfunc_end3:
	.size	_Z21silu_backward_kernel2PKfS0_Pfm, .Lfunc_end3-_Z21silu_backward_kernel2PKfS0_Pfm
                                        ; -- End function
	.set _Z21silu_backward_kernel2PKfS0_Pfm.num_vgpr, 10
	.set _Z21silu_backward_kernel2PKfS0_Pfm.num_agpr, 0
	.set _Z21silu_backward_kernel2PKfS0_Pfm.numbered_sgpr, 12
	.set _Z21silu_backward_kernel2PKfS0_Pfm.num_named_barrier, 0
	.set _Z21silu_backward_kernel2PKfS0_Pfm.private_seg_size, 0
	.set _Z21silu_backward_kernel2PKfS0_Pfm.uses_vcc, 1
	.set _Z21silu_backward_kernel2PKfS0_Pfm.uses_flat_scratch, 0
	.set _Z21silu_backward_kernel2PKfS0_Pfm.has_dyn_sized_stack, 0
	.set _Z21silu_backward_kernel2PKfS0_Pfm.has_recursion, 0
	.set _Z21silu_backward_kernel2PKfS0_Pfm.has_indirect_call, 0
	.section	.AMDGPU.csdata,"",@progbits
; Kernel info:
; codeLenInByte = 324
; TotalNumSgprs: 18
; NumVgprs: 10
; NumAgprs: 0
; TotalNumVgprs: 10
; ScratchSize: 0
; MemoryBound: 0
; FloatMode: 240
; IeeeMode: 1
; LDSByteSize: 0 bytes/workgroup (compile time only)
; SGPRBlocks: 2
; VGPRBlocks: 1
; NumSGPRsForWavesPerEU: 18
; NumVGPRsForWavesPerEU: 10
; AccumOffset: 12
; Occupancy: 8
; WaveLimiterHint : 0
; COMPUTE_PGM_RSRC2:SCRATCH_EN: 0
; COMPUTE_PGM_RSRC2:USER_SGPR: 2
; COMPUTE_PGM_RSRC2:TRAP_HANDLER: 0
; COMPUTE_PGM_RSRC2:TGID_X_EN: 1
; COMPUTE_PGM_RSRC2:TGID_Y_EN: 0
; COMPUTE_PGM_RSRC2:TGID_Z_EN: 0
; COMPUTE_PGM_RSRC2:TIDIG_COMP_CNT: 0
; COMPUTE_PGM_RSRC3_GFX90A:ACCUM_OFFSET: 2
; COMPUTE_PGM_RSRC3_GFX90A:TG_SPLIT: 0
	.text
	.protected	_Z21silu_backward_kernel3PKfS0_Pfm ; -- Begin function _Z21silu_backward_kernel3PKfS0_Pfm
	.globl	_Z21silu_backward_kernel3PKfS0_Pfm
	.p2align	8
	.type	_Z21silu_backward_kernel3PKfS0_Pfm,@function
_Z21silu_backward_kernel3PKfS0_Pfm:     ; @_Z21silu_backward_kernel3PKfS0_Pfm
; %bb.0:
	s_load_dword s3, s[0:1], 0x2c
	s_load_dwordx8 s[4:11], s[0:1], 0x0
	v_mov_b32_e32 v1, 0
	v_mov_b32_e32 v2, s2
	s_waitcnt lgkmcnt(0)
	s_and_b32 s12, s3, 0xffff
	v_mad_u64_u32 v[8:9], s[0:1], s12, v2, v[0:1]
	s_lshr_b64 s[0:1], s[10:11], 2
	s_nop 0
	v_cmp_gt_u64_e32 vcc, s[0:1], v[8:9]
	s_and_saveexec_b64 s[14:15], vcc
	s_cbranch_execz .LBB4_2
; %bb.1:
	v_lshlrev_b64 v[4:5], 4, v[8:9]
	v_lshl_add_u64 v[0:1], s[6:7], 0, v[4:5]
	global_load_dwordx4 v[0:3], v[0:1], off
	v_lshl_add_u64 v[6:7], s[4:5], 0, v[4:5]
	v_lshl_add_u64 v[10:11], s[8:9], 0, v[4:5]
	global_load_dwordx4 v[4:7], v[6:7], off
	s_mov_b32 s0, 0xbfb8aa3b
	s_mov_b32 s1, 0x42ce8ed0
	;; [unrolled: 1-line block ×3, first 2 shown]
	v_mov_b32_e32 v15, 0x7f800000
	s_waitcnt vmcnt(1)
	v_mul_f32_e32 v12, 0xbfb8aa3b, v0
	v_mul_f32_e32 v13, 0xbfb8aa3b, v1
	v_fma_f32 v17, v0, s0, -v12
	v_rndne_f32_e32 v18, v12
	v_mul_f32_e32 v14, 0xbfb8aa3b, v2
	v_fma_f32 v19, v1, s0, -v13
	v_rndne_f32_e32 v20, v13
	v_fmac_f32_e32 v17, 0xb2a5705f, v0
	v_sub_f32_e32 v12, v12, v18
	v_mul_f32_e32 v16, 0xbfb8aa3b, v3
	v_fma_f32 v21, v2, s0, -v14
	v_rndne_f32_e32 v22, v14
	v_fmac_f32_e32 v19, 0xb2a5705f, v1
	v_sub_f32_e32 v13, v13, v20
	v_add_f32_e32 v12, v12, v17
	v_fma_f32 v23, v3, s0, -v16
	v_rndne_f32_e32 v24, v16
	v_cvt_i32_f32_e32 v18, v18
	v_fmac_f32_e32 v21, 0xb2a5705f, v2
	v_sub_f32_e32 v14, v14, v22
	v_add_f32_e32 v13, v13, v19
	v_exp_f32_e32 v12, v12
	v_cvt_i32_f32_e32 v20, v20
	v_fmac_f32_e32 v23, 0xb2a5705f, v3
	v_sub_f32_e32 v16, v16, v24
	v_add_f32_e32 v14, v14, v21
	v_exp_f32_e32 v13, v13
	v_cvt_i32_f32_e32 v22, v22
	v_add_f32_e32 v16, v16, v23
	v_exp_f32_e32 v14, v14
	v_cvt_i32_f32_e32 v24, v24
	v_exp_f32_e32 v16, v16
	v_ldexp_f32 v12, v12, v18
	v_cmp_nlt_f32_e32 vcc, s1, v0
	v_ldexp_f32 v13, v13, v20
	v_ldexp_f32 v14, v14, v22
	v_cndmask_b32_e32 v12, 0, v12, vcc
	v_cmp_nlt_f32_e32 vcc, s1, v1
	v_ldexp_f32 v16, v16, v24
	s_nop 0
	v_cndmask_b32_e32 v13, 0, v13, vcc
	v_cmp_nlt_f32_e32 vcc, s1, v2
	s_nop 1
	v_cndmask_b32_e32 v14, 0, v14, vcc
	v_cmp_nlt_f32_e32 vcc, s1, v3
	s_nop 1
	v_cndmask_b32_e32 v16, 0, v16, vcc
	v_cmp_ngt_f32_e32 vcc, s2, v0
	s_nop 1
	v_cndmask_b32_e32 v12, v15, v12, vcc
	v_cmp_ngt_f32_e32 vcc, s2, v1
	;; [unrolled: 3-line block ×3, first 2 shown]
	v_pk_add_f32 v[12:13], v[12:13], 1.0 op_sel_hi:[1,0]
	s_nop 0
	v_cndmask_b32_e32 v14, v15, v14, vcc
	v_cmp_ngt_f32_e32 vcc, s2, v3
	v_div_scale_f32 v18, s[0:1], v12, v12, 1.0
	s_nop 0
	v_cndmask_b32_e32 v15, v15, v16, vcc
	v_div_scale_f32 v16, s[0:1], v13, v13, 1.0
	v_rcp_f32_e32 v23, v16
	v_rcp_f32_e32 v24, v18
	v_pk_add_f32 v[14:15], v[14:15], 1.0 op_sel_hi:[1,0]
	v_div_scale_f32 v17, vcc, 1.0, v13, 1.0
	v_fma_f32 v27, -v16, v23, 1.0
	v_fma_f32 v28, -v18, v24, 1.0
	v_fmac_f32_e32 v23, v27, v23
	v_div_scale_f32 v19, s[0:1], 1.0, v12, 1.0
	v_div_scale_f32 v20, s[2:3], v15, v15, 1.0
	v_fmac_f32_e32 v24, v28, v24
	v_mul_f32_e32 v27, v17, v23
	v_rcp_f32_e32 v25, v20
	v_mul_f32_e32 v28, v19, v24
	v_fma_f32 v30, -v16, v27, v17
	v_fma_f32 v31, -v18, v28, v19
	v_fmac_f32_e32 v27, v30, v23
	v_fmac_f32_e32 v28, v31, v24
	v_fma_f32 v16, -v16, v27, v17
	v_fma_f32 v17, -v18, v28, v19
	v_div_fmas_f32 v16, v16, v23, v27
	s_mov_b64 vcc, s[0:1]
	v_div_scale_f32 v22, s[16:17], v14, v14, 1.0
	v_fma_f32 v29, -v20, v25, 1.0
	v_div_fixup_f32 v13, v16, v13, 1.0
	v_div_fmas_f32 v16, v17, v24, v28
	v_div_scale_f32 v21, s[2:3], 1.0, v15, 1.0
	v_rcp_f32_e32 v26, v22
	v_fmac_f32_e32 v25, v29, v25
	v_div_fixup_f32 v12, v16, v12, 1.0
	v_mul_f32_e32 v29, v21, v25
	v_pk_add_f32 v[16:17], v[12:13], 1.0 op_sel_hi:[1,0] neg_lo:[1,0] neg_hi:[1,0]
	v_fma_f32 v32, -v20, v29, v21
	v_pk_fma_f32 v[0:1], v[0:1], v[16:17], 1.0 op_sel_hi:[1,1,0]
	v_fmac_f32_e32 v29, v32, v25
	v_pk_mul_f32 v[0:1], v[12:13], v[0:1]
	v_fma_f32 v18, -v20, v29, v21
	s_mov_b64 vcc, s[2:3]
	s_waitcnt vmcnt(0)
	v_pk_mul_f32 v[0:1], v[4:5], v[0:1]
	v_fma_f32 v4, -v22, v26, 1.0
	v_div_fmas_f32 v18, v18, v25, v29
	v_fmac_f32_e32 v26, v4, v26
	v_div_scale_f32 v4, vcc, 1.0, v14, 1.0
	v_mul_f32_e32 v12, v4, v26
	v_fma_f32 v13, -v22, v12, v4
	v_fmac_f32_e32 v12, v13, v26
	v_fma_f32 v4, -v22, v12, v4
	v_div_fmas_f32 v4, v4, v26, v12
	v_div_fixup_f32 v5, v18, v15, 1.0
	v_div_fixup_f32 v4, v4, v14, 1.0
	v_pk_add_f32 v[12:13], v[4:5], 1.0 op_sel_hi:[1,0] neg_lo:[1,0] neg_hi:[1,0]
	s_nop 0
	v_pk_fma_f32 v[2:3], v[2:3], v[12:13], 1.0 op_sel_hi:[1,1,0]
	s_nop 0
	v_pk_mul_f32 v[2:3], v[4:5], v[2:3]
	s_nop 0
	v_pk_mul_f32 v[2:3], v[6:7], v[2:3]
	global_store_dwordx4 v[10:11], v[0:3], off
.LBB4_2:
	s_or_b64 exec, exec, s[14:15]
	s_and_b32 s0, s10, -4
	s_mov_b32 s1, s11
	v_lshl_add_u64 v[0:1], v[8:9], 0, s[0:1]
	v_cmp_gt_u64_e32 vcc, s[10:11], v[0:1]
	s_and_saveexec_b64 s[0:1], vcc
	s_cbranch_execz .LBB4_5
; %bb.3:
	s_mov_b32 s13, 0
	v_lshlrev_b64 v[2:3], 2, v[0:1]
	s_lshl_b32 s0, s12, 2
	s_mov_b32 s1, s13
	s_mov_b64 s[2:3], 0
	s_mov_b32 s14, 0xbfb8aa3b
	s_mov_b32 s15, 0x42ce8ed0
	;; [unrolled: 1-line block ×3, first 2 shown]
	v_mov_b32_e32 v4, 0x7f800000
.LBB4_4:                                ; =>This Inner Loop Header: Depth=1
	v_lshl_add_u64 v[6:7], s[6:7], 0, v[2:3]
	global_load_dword v5, v[6:7], off
	v_lshl_add_u64 v[6:7], s[4:5], 0, v[2:3]
	global_load_dword v8, v[6:7], off
	v_lshl_add_u64 v[0:1], v[0:1], 0, s[12:13]
	v_cmp_le_u64_e32 vcc, s[10:11], v[0:1]
	s_or_b64 s[2:3], vcc, s[2:3]
	v_lshl_add_u64 v[6:7], s[8:9], 0, v[2:3]
	v_lshl_add_u64 v[2:3], v[2:3], 0, s[0:1]
	s_waitcnt vmcnt(1)
	v_mul_f32_e32 v9, 0xbfb8aa3b, v5
	v_fma_f32 v10, v5, s14, -v9
	v_rndne_f32_e32 v11, v9
	v_fmac_f32_e32 v10, 0xb2a5705f, v5
	v_sub_f32_e32 v9, v9, v11
	v_add_f32_e32 v9, v9, v10
	v_cvt_i32_f32_e32 v11, v11
	v_exp_f32_e32 v9, v9
	v_cmp_nlt_f32_e32 vcc, s15, v5
	v_ldexp_f32 v9, v9, v11
	s_nop 0
	v_cndmask_b32_e32 v9, 0, v9, vcc
	v_cmp_ngt_f32_e32 vcc, s16, v5
	s_nop 1
	v_cndmask_b32_e32 v9, v4, v9, vcc
	v_add_f32_e32 v9, 1.0, v9
	v_div_scale_f32 v10, s[18:19], v9, v9, 1.0
	v_rcp_f32_e32 v11, v10
	v_div_scale_f32 v12, vcc, 1.0, v9, 1.0
	v_fma_f32 v13, -v10, v11, 1.0
	v_fmac_f32_e32 v11, v13, v11
	v_mul_f32_e32 v13, v12, v11
	v_fma_f32 v14, -v10, v13, v12
	v_fmac_f32_e32 v13, v14, v11
	v_fma_f32 v10, -v10, v13, v12
	v_div_fmas_f32 v10, v10, v11, v13
	v_div_fixup_f32 v9, v10, v9, 1.0
	v_sub_f32_e32 v10, 1.0, v9
	v_fma_f32 v5, v5, v10, 1.0
	v_mul_f32_e32 v5, v9, v5
	s_waitcnt vmcnt(0)
	v_mul_f32_e32 v5, v8, v5
	global_store_dword v[6:7], v5, off
	s_andn2_b64 exec, exec, s[2:3]
	s_cbranch_execnz .LBB4_4
.LBB4_5:
	s_endpgm
	.section	.rodata,"a",@progbits
	.p2align	6, 0x0
	.amdhsa_kernel _Z21silu_backward_kernel3PKfS0_Pfm
		.amdhsa_group_segment_fixed_size 0
		.amdhsa_private_segment_fixed_size 0
		.amdhsa_kernarg_size 288
		.amdhsa_user_sgpr_count 2
		.amdhsa_user_sgpr_dispatch_ptr 0
		.amdhsa_user_sgpr_queue_ptr 0
		.amdhsa_user_sgpr_kernarg_segment_ptr 1
		.amdhsa_user_sgpr_dispatch_id 0
		.amdhsa_user_sgpr_kernarg_preload_length 0
		.amdhsa_user_sgpr_kernarg_preload_offset 0
		.amdhsa_user_sgpr_private_segment_size 0
		.amdhsa_uses_dynamic_stack 0
		.amdhsa_enable_private_segment 0
		.amdhsa_system_sgpr_workgroup_id_x 1
		.amdhsa_system_sgpr_workgroup_id_y 0
		.amdhsa_system_sgpr_workgroup_id_z 0
		.amdhsa_system_sgpr_workgroup_info 0
		.amdhsa_system_vgpr_workitem_id 0
		.amdhsa_next_free_vgpr 33
		.amdhsa_next_free_sgpr 20
		.amdhsa_accum_offset 36
		.amdhsa_reserve_vcc 1
		.amdhsa_float_round_mode_32 0
		.amdhsa_float_round_mode_16_64 0
		.amdhsa_float_denorm_mode_32 3
		.amdhsa_float_denorm_mode_16_64 3
		.amdhsa_dx10_clamp 1
		.amdhsa_ieee_mode 1
		.amdhsa_fp16_overflow 0
		.amdhsa_tg_split 0
		.amdhsa_exception_fp_ieee_invalid_op 0
		.amdhsa_exception_fp_denorm_src 0
		.amdhsa_exception_fp_ieee_div_zero 0
		.amdhsa_exception_fp_ieee_overflow 0
		.amdhsa_exception_fp_ieee_underflow 0
		.amdhsa_exception_fp_ieee_inexact 0
		.amdhsa_exception_int_div_zero 0
	.end_amdhsa_kernel
	.text
.Lfunc_end4:
	.size	_Z21silu_backward_kernel3PKfS0_Pfm, .Lfunc_end4-_Z21silu_backward_kernel3PKfS0_Pfm
                                        ; -- End function
	.set _Z21silu_backward_kernel3PKfS0_Pfm.num_vgpr, 33
	.set _Z21silu_backward_kernel3PKfS0_Pfm.num_agpr, 0
	.set _Z21silu_backward_kernel3PKfS0_Pfm.numbered_sgpr, 20
	.set _Z21silu_backward_kernel3PKfS0_Pfm.num_named_barrier, 0
	.set _Z21silu_backward_kernel3PKfS0_Pfm.private_seg_size, 0
	.set _Z21silu_backward_kernel3PKfS0_Pfm.uses_vcc, 1
	.set _Z21silu_backward_kernel3PKfS0_Pfm.uses_flat_scratch, 0
	.set _Z21silu_backward_kernel3PKfS0_Pfm.has_dyn_sized_stack, 0
	.set _Z21silu_backward_kernel3PKfS0_Pfm.has_recursion, 0
	.set _Z21silu_backward_kernel3PKfS0_Pfm.has_indirect_call, 0
	.section	.AMDGPU.csdata,"",@progbits
; Kernel info:
; codeLenInByte = 1200
; TotalNumSgprs: 26
; NumVgprs: 33
; NumAgprs: 0
; TotalNumVgprs: 33
; ScratchSize: 0
; MemoryBound: 0
; FloatMode: 240
; IeeeMode: 1
; LDSByteSize: 0 bytes/workgroup (compile time only)
; SGPRBlocks: 3
; VGPRBlocks: 4
; NumSGPRsForWavesPerEU: 26
; NumVGPRsForWavesPerEU: 33
; AccumOffset: 36
; Occupancy: 8
; WaveLimiterHint : 0
; COMPUTE_PGM_RSRC2:SCRATCH_EN: 0
; COMPUTE_PGM_RSRC2:USER_SGPR: 2
; COMPUTE_PGM_RSRC2:TRAP_HANDLER: 0
; COMPUTE_PGM_RSRC2:TGID_X_EN: 1
; COMPUTE_PGM_RSRC2:TGID_Y_EN: 0
; COMPUTE_PGM_RSRC2:TGID_Z_EN: 0
; COMPUTE_PGM_RSRC2:TIDIG_COMP_CNT: 0
; COMPUTE_PGM_RSRC3_GFX90A:ACCUM_OFFSET: 8
; COMPUTE_PGM_RSRC3_GFX90A:TG_SPLIT: 0
	.text
	.p2alignl 6, 3212836864
	.fill 256, 4, 3212836864
	.section	.AMDGPU.gpr_maximums,"",@progbits
	.set amdgpu.max_num_vgpr, 0
	.set amdgpu.max_num_agpr, 0
	.set amdgpu.max_num_sgpr, 0
	.text
	.type	__hip_cuid_d6d4b55cab786589,@object ; @__hip_cuid_d6d4b55cab786589
	.section	.bss,"aw",@nobits
	.globl	__hip_cuid_d6d4b55cab786589
__hip_cuid_d6d4b55cab786589:
	.byte	0                               ; 0x0
	.size	__hip_cuid_d6d4b55cab786589, 1

	.ident	"AMD clang version 22.0.0git (https://github.com/RadeonOpenCompute/llvm-project roc-7.2.4 26084 f58b06dce1f9c15707c5f808fd002e18c2accf7e)"
	.section	".note.GNU-stack","",@progbits
	.addrsig
	.addrsig_sym __hip_cuid_d6d4b55cab786589
	.amdgpu_metadata
---
amdhsa.kernels:
  - .agpr_count:     0
    .args:
      - .address_space:  global
        .offset:         0
        .size:           8
        .value_kind:     global_buffer
      - .address_space:  global
        .offset:         8
        .size:           8
        .value_kind:     global_buffer
      - .offset:         16
        .size:           8
        .value_kind:     by_value
      - .offset:         24
        .size:           4
        .value_kind:     hidden_block_count_x
      - .offset:         28
        .size:           4
        .value_kind:     hidden_block_count_y
      - .offset:         32
        .size:           4
        .value_kind:     hidden_block_count_z
      - .offset:         36
        .size:           2
        .value_kind:     hidden_group_size_x
      - .offset:         38
        .size:           2
        .value_kind:     hidden_group_size_y
      - .offset:         40
        .size:           2
        .value_kind:     hidden_group_size_z
      - .offset:         42
        .size:           2
        .value_kind:     hidden_remainder_x
      - .offset:         44
        .size:           2
        .value_kind:     hidden_remainder_y
      - .offset:         46
        .size:           2
        .value_kind:     hidden_remainder_z
      - .offset:         64
        .size:           8
        .value_kind:     hidden_global_offset_x
      - .offset:         72
        .size:           8
        .value_kind:     hidden_global_offset_y
      - .offset:         80
        .size:           8
        .value_kind:     hidden_global_offset_z
      - .offset:         88
        .size:           2
        .value_kind:     hidden_grid_dims
    .group_segment_fixed_size: 0
    .kernarg_segment_align: 8
    .kernarg_segment_size: 280
    .language:       OpenCL C
    .language_version:
      - 2
      - 0
    .max_flat_workgroup_size: 1024
    .name:           _Z19silu_forward_kernelPKfPfm
    .private_segment_fixed_size: 0
    .sgpr_count:     12
    .sgpr_spill_count: 0
    .symbol:         _Z19silu_forward_kernelPKfPfm.kd
    .uniform_work_group_size: 1
    .uses_dynamic_stack: false
    .vgpr_count:     9
    .vgpr_spill_count: 0
    .wavefront_size: 64
  - .agpr_count:     0
    .args:
      - .address_space:  global
        .offset:         0
        .size:           8
        .value_kind:     global_buffer
      - .address_space:  global
        .offset:         8
        .size:           8
        .value_kind:     global_buffer
      - .offset:         16
        .size:           8
        .value_kind:     by_value
      - .offset:         24
        .size:           4
        .value_kind:     hidden_block_count_x
      - .offset:         28
        .size:           4
        .value_kind:     hidden_block_count_y
      - .offset:         32
        .size:           4
        .value_kind:     hidden_block_count_z
      - .offset:         36
        .size:           2
        .value_kind:     hidden_group_size_x
      - .offset:         38
        .size:           2
        .value_kind:     hidden_group_size_y
      - .offset:         40
        .size:           2
        .value_kind:     hidden_group_size_z
      - .offset:         42
        .size:           2
        .value_kind:     hidden_remainder_x
      - .offset:         44
        .size:           2
        .value_kind:     hidden_remainder_y
      - .offset:         46
        .size:           2
        .value_kind:     hidden_remainder_z
      - .offset:         64
        .size:           8
        .value_kind:     hidden_global_offset_x
      - .offset:         72
        .size:           8
        .value_kind:     hidden_global_offset_y
      - .offset:         80
        .size:           8
        .value_kind:     hidden_global_offset_z
      - .offset:         88
        .size:           2
        .value_kind:     hidden_grid_dims
    .group_segment_fixed_size: 0
    .kernarg_segment_align: 8
    .kernarg_segment_size: 280
    .language:       OpenCL C
    .language_version:
      - 2
      - 0
    .max_flat_workgroup_size: 1024
    .name:           _Z20silu_forward_kernel2PKfPfm
    .private_segment_fixed_size: 0
    .sgpr_count:     24
    .sgpr_spill_count: 0
    .symbol:         _Z20silu_forward_kernel2PKfPfm.kd
    .uniform_work_group_size: 1
    .uses_dynamic_stack: false
    .vgpr_count:     29
    .vgpr_spill_count: 0
    .wavefront_size: 64
  - .agpr_count:     0
    .args:
      - .address_space:  global
        .offset:         0
        .size:           8
        .value_kind:     global_buffer
      - .address_space:  global
        .offset:         8
        .size:           8
        .value_kind:     global_buffer
      - .address_space:  global
        .offset:         16
        .size:           8
        .value_kind:     global_buffer
      - .offset:         24
        .size:           8
        .value_kind:     by_value
      - .offset:         32
        .size:           4
        .value_kind:     hidden_block_count_x
      - .offset:         36
        .size:           4
        .value_kind:     hidden_block_count_y
      - .offset:         40
        .size:           4
        .value_kind:     hidden_block_count_z
      - .offset:         44
        .size:           2
        .value_kind:     hidden_group_size_x
      - .offset:         46
        .size:           2
        .value_kind:     hidden_group_size_y
      - .offset:         48
        .size:           2
        .value_kind:     hidden_group_size_z
      - .offset:         50
        .size:           2
        .value_kind:     hidden_remainder_x
      - .offset:         52
        .size:           2
        .value_kind:     hidden_remainder_y
      - .offset:         54
        .size:           2
        .value_kind:     hidden_remainder_z
      - .offset:         72
        .size:           8
        .value_kind:     hidden_global_offset_x
      - .offset:         80
        .size:           8
        .value_kind:     hidden_global_offset_y
      - .offset:         88
        .size:           8
        .value_kind:     hidden_global_offset_z
      - .offset:         96
        .size:           2
        .value_kind:     hidden_grid_dims
    .group_segment_fixed_size: 0
    .kernarg_segment_align: 8
    .kernarg_segment_size: 288
    .language:       OpenCL C
    .language_version:
      - 2
      - 0
    .max_flat_workgroup_size: 1024
    .name:           _Z20silu_backward_kernelPKfS0_Pfm
    .private_segment_fixed_size: 0
    .sgpr_count:     18
    .sgpr_spill_count: 0
    .symbol:         _Z20silu_backward_kernelPKfS0_Pfm.kd
    .uniform_work_group_size: 1
    .uses_dynamic_stack: false
    .vgpr_count:     10
    .vgpr_spill_count: 0
    .wavefront_size: 64
  - .agpr_count:     0
    .args:
      - .address_space:  global
        .offset:         0
        .size:           8
        .value_kind:     global_buffer
      - .address_space:  global
        .offset:         8
        .size:           8
        .value_kind:     global_buffer
      - .address_space:  global
        .offset:         16
        .size:           8
        .value_kind:     global_buffer
      - .offset:         24
        .size:           8
        .value_kind:     by_value
      - .offset:         32
        .size:           4
        .value_kind:     hidden_block_count_x
      - .offset:         36
        .size:           4
        .value_kind:     hidden_block_count_y
      - .offset:         40
        .size:           4
        .value_kind:     hidden_block_count_z
      - .offset:         44
        .size:           2
        .value_kind:     hidden_group_size_x
      - .offset:         46
        .size:           2
        .value_kind:     hidden_group_size_y
      - .offset:         48
        .size:           2
        .value_kind:     hidden_group_size_z
      - .offset:         50
        .size:           2
        .value_kind:     hidden_remainder_x
      - .offset:         52
        .size:           2
        .value_kind:     hidden_remainder_y
      - .offset:         54
        .size:           2
        .value_kind:     hidden_remainder_z
      - .offset:         72
        .size:           8
        .value_kind:     hidden_global_offset_x
      - .offset:         80
        .size:           8
        .value_kind:     hidden_global_offset_y
      - .offset:         88
        .size:           8
        .value_kind:     hidden_global_offset_z
      - .offset:         96
        .size:           2
        .value_kind:     hidden_grid_dims
    .group_segment_fixed_size: 0
    .kernarg_segment_align: 8
    .kernarg_segment_size: 288
    .language:       OpenCL C
    .language_version:
      - 2
      - 0
    .max_flat_workgroup_size: 1024
    .name:           _Z21silu_backward_kernel2PKfS0_Pfm
    .private_segment_fixed_size: 0
    .sgpr_count:     18
    .sgpr_spill_count: 0
    .symbol:         _Z21silu_backward_kernel2PKfS0_Pfm.kd
    .uniform_work_group_size: 1
    .uses_dynamic_stack: false
    .vgpr_count:     10
    .vgpr_spill_count: 0
    .wavefront_size: 64
  - .agpr_count:     0
    .args:
      - .address_space:  global
        .offset:         0
        .size:           8
        .value_kind:     global_buffer
      - .address_space:  global
        .offset:         8
        .size:           8
        .value_kind:     global_buffer
      - .address_space:  global
        .offset:         16
        .size:           8
        .value_kind:     global_buffer
      - .offset:         24
        .size:           8
        .value_kind:     by_value
      - .offset:         32
        .size:           4
        .value_kind:     hidden_block_count_x
      - .offset:         36
        .size:           4
        .value_kind:     hidden_block_count_y
      - .offset:         40
        .size:           4
        .value_kind:     hidden_block_count_z
      - .offset:         44
        .size:           2
        .value_kind:     hidden_group_size_x
      - .offset:         46
        .size:           2
        .value_kind:     hidden_group_size_y
      - .offset:         48
        .size:           2
        .value_kind:     hidden_group_size_z
      - .offset:         50
        .size:           2
        .value_kind:     hidden_remainder_x
      - .offset:         52
        .size:           2
        .value_kind:     hidden_remainder_y
      - .offset:         54
        .size:           2
        .value_kind:     hidden_remainder_z
      - .offset:         72
        .size:           8
        .value_kind:     hidden_global_offset_x
      - .offset:         80
        .size:           8
        .value_kind:     hidden_global_offset_y
      - .offset:         88
        .size:           8
        .value_kind:     hidden_global_offset_z
      - .offset:         96
        .size:           2
        .value_kind:     hidden_grid_dims
    .group_segment_fixed_size: 0
    .kernarg_segment_align: 8
    .kernarg_segment_size: 288
    .language:       OpenCL C
    .language_version:
      - 2
      - 0
    .max_flat_workgroup_size: 1024
    .name:           _Z21silu_backward_kernel3PKfS0_Pfm
    .private_segment_fixed_size: 0
    .sgpr_count:     26
    .sgpr_spill_count: 0
    .symbol:         _Z21silu_backward_kernel3PKfS0_Pfm.kd
    .uniform_work_group_size: 1
    .uses_dynamic_stack: false
    .vgpr_count:     33
    .vgpr_spill_count: 0
    .wavefront_size: 64
amdhsa.target:   amdgcn-amd-amdhsa--gfx950
amdhsa.version:
  - 1
  - 2
...

	.end_amdgpu_metadata
